;; amdgpu-corpus repo=ROCm/rocFFT kind=compiled arch=gfx906 opt=O3
	.text
	.amdgcn_target "amdgcn-amd-amdhsa--gfx906"
	.amdhsa_code_object_version 6
	.protected	fft_rtc_fwd_len26_factors_13_2_wgs_64_tpt_2_halfLds_sp_op_CI_CI_unitstride_sbrr_C2R_dirReg ; -- Begin function fft_rtc_fwd_len26_factors_13_2_wgs_64_tpt_2_halfLds_sp_op_CI_CI_unitstride_sbrr_C2R_dirReg
	.globl	fft_rtc_fwd_len26_factors_13_2_wgs_64_tpt_2_halfLds_sp_op_CI_CI_unitstride_sbrr_C2R_dirReg
	.p2align	8
	.type	fft_rtc_fwd_len26_factors_13_2_wgs_64_tpt_2_halfLds_sp_op_CI_CI_unitstride_sbrr_C2R_dirReg,@function
fft_rtc_fwd_len26_factors_13_2_wgs_64_tpt_2_halfLds_sp_op_CI_CI_unitstride_sbrr_C2R_dirReg: ; @fft_rtc_fwd_len26_factors_13_2_wgs_64_tpt_2_halfLds_sp_op_CI_CI_unitstride_sbrr_C2R_dirReg
; %bb.0:
	s_load_dwordx4 s[8:11], s[4:5], 0x58
	s_load_dwordx4 s[12:15], s[4:5], 0x0
	;; [unrolled: 1-line block ×3, first 2 shown]
	v_lshrrev_b32_e32 v7, 1, v0
	v_mov_b32_e32 v3, 0
	v_mov_b32_e32 v1, 0
	s_waitcnt lgkmcnt(0)
	v_cmp_lt_u64_e64 s[0:1], s[14:15], 2
	v_lshl_or_b32 v5, s6, 5, v7
	v_mov_b32_e32 v6, v3
	s_and_b64 vcc, exec, s[0:1]
	v_mov_b32_e32 v2, 0
	s_cbranch_vccnz .LBB0_8
; %bb.1:
	s_load_dwordx2 s[0:1], s[4:5], 0x10
	s_add_u32 s2, s18, 8
	s_addc_u32 s3, s19, 0
	s_add_u32 s6, s16, 8
	v_mov_b32_e32 v1, 0
	s_addc_u32 s7, s17, 0
	v_mov_b32_e32 v2, 0
	s_waitcnt lgkmcnt(0)
	s_add_u32 s20, s0, 8
	v_mov_b32_e32 v25, v2
	s_addc_u32 s21, s1, 0
	s_mov_b64 s[22:23], 1
	v_mov_b32_e32 v24, v1
.LBB0_2:                                ; =>This Inner Loop Header: Depth=1
	s_load_dwordx2 s[24:25], s[20:21], 0x0
                                        ; implicit-def: $vgpr26_vgpr27
	s_waitcnt lgkmcnt(0)
	v_or_b32_e32 v4, s25, v6
	v_cmp_ne_u64_e32 vcc, 0, v[3:4]
	s_and_saveexec_b64 s[0:1], vcc
	s_xor_b64 s[26:27], exec, s[0:1]
	s_cbranch_execz .LBB0_4
; %bb.3:                                ;   in Loop: Header=BB0_2 Depth=1
	v_cvt_f32_u32_e32 v4, s24
	v_cvt_f32_u32_e32 v8, s25
	s_sub_u32 s0, 0, s24
	s_subb_u32 s1, 0, s25
	v_mac_f32_e32 v4, 0x4f800000, v8
	v_rcp_f32_e32 v4, v4
	v_mul_f32_e32 v4, 0x5f7ffffc, v4
	v_mul_f32_e32 v8, 0x2f800000, v4
	v_trunc_f32_e32 v8, v8
	v_mac_f32_e32 v4, 0xcf800000, v8
	v_cvt_u32_f32_e32 v8, v8
	v_cvt_u32_f32_e32 v4, v4
	v_mul_lo_u32 v9, s0, v8
	v_mul_hi_u32 v10, s0, v4
	v_mul_lo_u32 v12, s1, v4
	v_mul_lo_u32 v11, s0, v4
	v_add_u32_e32 v9, v10, v9
	v_add_u32_e32 v9, v9, v12
	v_mul_hi_u32 v10, v4, v11
	v_mul_lo_u32 v12, v4, v9
	v_mul_hi_u32 v14, v4, v9
	v_mul_hi_u32 v13, v8, v11
	v_mul_lo_u32 v11, v8, v11
	v_mul_hi_u32 v15, v8, v9
	v_add_co_u32_e32 v10, vcc, v10, v12
	v_addc_co_u32_e32 v12, vcc, 0, v14, vcc
	v_mul_lo_u32 v9, v8, v9
	v_add_co_u32_e32 v10, vcc, v10, v11
	v_addc_co_u32_e32 v10, vcc, v12, v13, vcc
	v_addc_co_u32_e32 v11, vcc, 0, v15, vcc
	v_add_co_u32_e32 v9, vcc, v10, v9
	v_addc_co_u32_e32 v10, vcc, 0, v11, vcc
	v_add_co_u32_e32 v4, vcc, v4, v9
	v_addc_co_u32_e32 v8, vcc, v8, v10, vcc
	v_mul_lo_u32 v9, s0, v8
	v_mul_hi_u32 v10, s0, v4
	v_mul_lo_u32 v11, s1, v4
	v_mul_lo_u32 v12, s0, v4
	v_add_u32_e32 v9, v10, v9
	v_add_u32_e32 v9, v9, v11
	v_mul_lo_u32 v13, v4, v9
	v_mul_hi_u32 v14, v4, v12
	v_mul_hi_u32 v15, v4, v9
	v_mul_hi_u32 v11, v8, v12
	v_mul_lo_u32 v12, v8, v12
	v_mul_hi_u32 v10, v8, v9
	v_add_co_u32_e32 v13, vcc, v14, v13
	v_addc_co_u32_e32 v14, vcc, 0, v15, vcc
	v_mul_lo_u32 v9, v8, v9
	v_add_co_u32_e32 v12, vcc, v13, v12
	v_addc_co_u32_e32 v11, vcc, v14, v11, vcc
	v_addc_co_u32_e32 v10, vcc, 0, v10, vcc
	v_add_co_u32_e32 v9, vcc, v11, v9
	v_addc_co_u32_e32 v10, vcc, 0, v10, vcc
	v_add_co_u32_e32 v4, vcc, v4, v9
	v_addc_co_u32_e32 v10, vcc, v8, v10, vcc
	v_mad_u64_u32 v[8:9], s[0:1], v5, v10, 0
	v_mul_hi_u32 v11, v5, v4
	v_add_co_u32_e32 v12, vcc, v11, v8
	v_addc_co_u32_e32 v13, vcc, 0, v9, vcc
	v_mad_u64_u32 v[8:9], s[0:1], v6, v4, 0
	v_mad_u64_u32 v[10:11], s[0:1], v6, v10, 0
	v_add_co_u32_e32 v4, vcc, v12, v8
	v_addc_co_u32_e32 v4, vcc, v13, v9, vcc
	v_addc_co_u32_e32 v8, vcc, 0, v11, vcc
	v_add_co_u32_e32 v4, vcc, v4, v10
	v_addc_co_u32_e32 v10, vcc, 0, v8, vcc
	v_mul_lo_u32 v11, s25, v4
	v_mul_lo_u32 v12, s24, v10
	v_mad_u64_u32 v[8:9], s[0:1], s24, v4, 0
	v_add3_u32 v9, v9, v12, v11
	v_sub_u32_e32 v11, v6, v9
	v_mov_b32_e32 v12, s25
	v_sub_co_u32_e32 v8, vcc, v5, v8
	v_subb_co_u32_e64 v11, s[0:1], v11, v12, vcc
	v_subrev_co_u32_e64 v12, s[0:1], s24, v8
	v_subbrev_co_u32_e64 v11, s[0:1], 0, v11, s[0:1]
	v_cmp_le_u32_e64 s[0:1], s25, v11
	v_cndmask_b32_e64 v13, 0, -1, s[0:1]
	v_cmp_le_u32_e64 s[0:1], s24, v12
	v_cndmask_b32_e64 v12, 0, -1, s[0:1]
	v_cmp_eq_u32_e64 s[0:1], s25, v11
	v_cndmask_b32_e64 v11, v13, v12, s[0:1]
	v_add_co_u32_e64 v12, s[0:1], 2, v4
	v_addc_co_u32_e64 v13, s[0:1], 0, v10, s[0:1]
	v_add_co_u32_e64 v14, s[0:1], 1, v4
	v_addc_co_u32_e64 v15, s[0:1], 0, v10, s[0:1]
	v_subb_co_u32_e32 v9, vcc, v6, v9, vcc
	v_cmp_ne_u32_e64 s[0:1], 0, v11
	v_cmp_le_u32_e32 vcc, s25, v9
	v_cndmask_b32_e64 v11, v15, v13, s[0:1]
	v_cndmask_b32_e64 v13, 0, -1, vcc
	v_cmp_le_u32_e32 vcc, s24, v8
	v_cndmask_b32_e64 v8, 0, -1, vcc
	v_cmp_eq_u32_e32 vcc, s25, v9
	v_cndmask_b32_e32 v8, v13, v8, vcc
	v_cmp_ne_u32_e32 vcc, 0, v8
	v_cndmask_b32_e64 v8, v14, v12, s[0:1]
	v_cndmask_b32_e32 v27, v10, v11, vcc
	v_cndmask_b32_e32 v26, v4, v8, vcc
.LBB0_4:                                ;   in Loop: Header=BB0_2 Depth=1
	s_andn2_saveexec_b64 s[0:1], s[26:27]
	s_cbranch_execz .LBB0_6
; %bb.5:                                ;   in Loop: Header=BB0_2 Depth=1
	v_cvt_f32_u32_e32 v4, s24
	s_sub_i32 s26, 0, s24
	v_mov_b32_e32 v27, v3
	v_rcp_iflag_f32_e32 v4, v4
	v_mul_f32_e32 v4, 0x4f7ffffe, v4
	v_cvt_u32_f32_e32 v4, v4
	v_mul_lo_u32 v8, s26, v4
	v_mul_hi_u32 v8, v4, v8
	v_add_u32_e32 v4, v4, v8
	v_mul_hi_u32 v4, v5, v4
	v_mul_lo_u32 v8, v4, s24
	v_add_u32_e32 v9, 1, v4
	v_sub_u32_e32 v8, v5, v8
	v_subrev_u32_e32 v10, s24, v8
	v_cmp_le_u32_e32 vcc, s24, v8
	v_cndmask_b32_e32 v8, v8, v10, vcc
	v_cndmask_b32_e32 v4, v4, v9, vcc
	v_add_u32_e32 v9, 1, v4
	v_cmp_le_u32_e32 vcc, s24, v8
	v_cndmask_b32_e32 v26, v4, v9, vcc
.LBB0_6:                                ;   in Loop: Header=BB0_2 Depth=1
	s_or_b64 exec, exec, s[0:1]
	v_mul_lo_u32 v4, v27, s24
	v_mul_lo_u32 v10, v26, s25
	v_mad_u64_u32 v[8:9], s[0:1], v26, s24, 0
	s_load_dwordx2 s[0:1], s[6:7], 0x0
	s_load_dwordx2 s[24:25], s[2:3], 0x0
	v_add3_u32 v4, v9, v10, v4
	v_sub_co_u32_e32 v5, vcc, v5, v8
	v_subb_co_u32_e32 v4, vcc, v6, v4, vcc
	s_waitcnt lgkmcnt(0)
	v_mul_lo_u32 v6, s0, v4
	v_mul_lo_u32 v8, s1, v5
	v_mad_u64_u32 v[1:2], s[0:1], s0, v5, v[1:2]
	v_mul_lo_u32 v4, s24, v4
	v_mul_lo_u32 v9, s25, v5
	v_mad_u64_u32 v[24:25], s[0:1], s24, v5, v[24:25]
	s_add_u32 s22, s22, 1
	s_addc_u32 s23, s23, 0
	s_add_u32 s2, s2, 8
	v_add3_u32 v25, v9, v25, v4
	s_addc_u32 s3, s3, 0
	v_mov_b32_e32 v4, s14
	s_add_u32 s6, s6, 8
	v_mov_b32_e32 v5, s15
	s_addc_u32 s7, s7, 0
	v_cmp_ge_u64_e32 vcc, s[22:23], v[4:5]
	s_add_u32 s20, s20, 8
	v_add3_u32 v2, v8, v2, v6
	s_addc_u32 s21, s21, 0
	s_cbranch_vccnz .LBB0_9
; %bb.7:                                ;   in Loop: Header=BB0_2 Depth=1
	v_mov_b32_e32 v5, v26
	v_mov_b32_e32 v6, v27
	s_branch .LBB0_2
.LBB0_8:
	v_mov_b32_e32 v25, v2
	v_mov_b32_e32 v27, v6
	;; [unrolled: 1-line block ×4, first 2 shown]
.LBB0_9:
	s_load_dwordx2 s[0:1], s[4:5], 0x28
	s_lshl_b64 s[6:7], s[14:15], 3
	s_add_u32 s4, s18, s6
	s_addc_u32 s5, s19, s7
	v_and_b32_e32 v0, 1, v0
	s_waitcnt lgkmcnt(0)
	v_cmp_gt_u64_e32 vcc, s[0:1], v[26:27]
	v_cmp_le_u64_e64 s[0:1], s[0:1], v[26:27]
                                        ; implicit-def: $vgpr3_vgpr4
	s_and_saveexec_b64 s[2:3], s[0:1]
	s_xor_b64 s[0:1], exec, s[2:3]
; %bb.10:
	v_mov_b32_e32 v1, 0
	v_mov_b32_e32 v4, v1
	;; [unrolled: 1-line block ×3, first 2 shown]
                                        ; implicit-def: $vgpr1_vgpr2
; %bb.11:
	s_or_saveexec_b64 s[2:3], s[0:1]
	s_load_dwordx2 s[4:5], s[4:5], 0x0
	v_mul_u32_u24_e32 v40, 27, v7
	v_lshlrev_b32_e32 v5, 3, v40
                                        ; implicit-def: $vgpr28
	s_xor_b64 exec, exec, s[2:3]
	s_cbranch_execz .LBB0_15
; %bb.12:
	s_add_u32 s0, s16, s6
	s_addc_u32 s1, s17, s7
	s_load_dwordx2 s[0:1], s[0:1], 0x0
	v_mov_b32_e32 v8, s9
	v_lshlrev_b64 v[1:2], 3, v[1:2]
	v_mov_b32_e32 v28, 0
	s_waitcnt lgkmcnt(0)
	v_mul_lo_u32 v6, s1, v26
	v_mul_lo_u32 v7, s0, v27
	v_mad_u64_u32 v[3:4], s[0:1], s0, v26, 0
	v_add3_u32 v4, v4, v7, v6
	v_lshlrev_b64 v[3:4], 3, v[3:4]
	v_lshlrev_b32_e32 v6, 3, v0
	v_add_co_u32_e64 v3, s[0:1], s8, v3
	v_addc_co_u32_e64 v4, s[0:1], v8, v4, s[0:1]
	v_add_co_u32_e64 v1, s[0:1], v3, v1
	v_addc_co_u32_e64 v2, s[0:1], v4, v2, s[0:1]
	;; [unrolled: 2-line block ×3, first 2 shown]
	global_load_dwordx2 v[7:8], v[1:2], off
	global_load_dwordx2 v[9:10], v[1:2], off offset:16
	global_load_dwordx2 v[11:12], v[1:2], off offset:32
	;; [unrolled: 1-line block ×12, first 2 shown]
	v_mov_b32_e32 v3, 0
	v_mov_b32_e32 v4, 0
	v_add3_u32 v6, 0, v5, v6
	v_cmp_eq_u32_e64 s[0:1], 1, v0
	s_waitcnt vmcnt(11)
	ds_write2_b64 v6, v[7:8], v[9:10] offset1:2
	s_waitcnt vmcnt(9)
	ds_write2_b64 v6, v[11:12], v[13:14] offset0:4 offset1:6
	s_waitcnt vmcnt(7)
	ds_write2_b64 v6, v[15:16], v[17:18] offset0:8 offset1:10
	;; [unrolled: 2-line block ×5, first 2 shown]
	s_waitcnt vmcnt(0)
	ds_write_b64 v6, v[37:38] offset:192
	s_and_saveexec_b64 s[6:7], s[0:1]
	s_cbranch_execz .LBB0_14
; %bb.13:
	global_load_dwordx2 v[2:3], v[1:2], off offset:200
	v_mov_b32_e32 v1, v28
	v_mov_b32_e32 v28, 1
	s_waitcnt vmcnt(0)
	ds_write_b64 v6, v[2:3] offset:200
	v_mov_b32_e32 v4, v1
	v_mov_b32_e32 v3, v0
.LBB0_14:
	s_or_b64 exec, exec, s[6:7]
	v_mov_b32_e32 v0, v28
.LBB0_15:
	s_or_b64 exec, exec, s[2:3]
	v_lshl_add_u32 v39, v40, 3, 0
	v_lshlrev_b32_e32 v1, 3, v0
	v_add_u32_e32 v20, v39, v1
	s_waitcnt lgkmcnt(0)
	; wave barrier
	s_waitcnt lgkmcnt(0)
	v_sub_u32_e32 v6, v39, v1
	ds_read_b32 v1, v20
	ds_read_b32 v7, v6 offset:208
	v_lshlrev_b64 v[29:30], 3, v[3:4]
	v_cmp_eq_u32_e64 s[0:1], 0, v0
	v_cmp_ne_u32_e64 s[2:3], 0, v0
	s_waitcnt lgkmcnt(0)
	v_add_f32_e32 v2, v7, v1
	v_sub_f32_e32 v3, v1, v7
	s_and_saveexec_b64 s[6:7], s[2:3]
	s_xor_b64 s[6:7], exec, s[6:7]
	s_cbranch_execz .LBB0_17
; %bb.16:
	v_mov_b32_e32 v3, s13
	v_add_co_u32_e64 v2, s[2:3], s12, v29
	v_addc_co_u32_e64 v3, s[2:3], v3, v30, s[2:3]
	global_load_dwordx2 v[8:9], v[2:3], off offset:104
	ds_read_b32 v2, v6 offset:212
	ds_read_b32 v3, v20 offset:4
	v_add_f32_e32 v4, v7, v1
	v_sub_f32_e32 v1, v1, v7
	s_waitcnt lgkmcnt(0)
	v_add_f32_e32 v7, v2, v3
	v_sub_f32_e32 v2, v3, v2
	s_waitcnt vmcnt(0)
	v_fma_f32 v10, -v1, v9, v4
	v_fma_f32 v11, v7, v9, -v2
	v_fma_f32 v12, v1, v9, v4
	v_fma_f32 v3, v7, v9, v2
	v_fmac_f32_e32 v10, v8, v7
	v_fmac_f32_e32 v11, v1, v8
	v_fma_f32 v2, -v8, v7, v12
	v_fmac_f32_e32 v3, v1, v8
	ds_write_b64 v6, v[10:11] offset:208
.LBB0_17:
	s_andn2_saveexec_b64 s[2:3], s[6:7]
	s_cbranch_execz .LBB0_19
; %bb.18:
	ds_read_b64 v[7:8], v39 offset:104
	s_waitcnt lgkmcnt(0)
	v_add_f32_e32 v7, v7, v7
	v_mul_f32_e32 v8, -2.0, v8
	ds_write_b64 v39, v[7:8] offset:104
.LBB0_19:
	s_or_b64 exec, exec, s[2:3]
	v_mov_b32_e32 v1, 0
	s_add_u32 s2, s12, 0x68
	v_lshlrev_b64 v[31:32], 3, v[0:1]
	s_addc_u32 s3, s13, 0
	v_mov_b32_e32 v1, s3
	v_add_co_u32_e64 v7, s[2:3], s2, v31
	v_addc_co_u32_e64 v8, s[2:3], v1, v32, s[2:3]
	global_load_dwordx2 v[9:10], v[7:8], off offset:16
	global_load_dwordx2 v[11:12], v[7:8], off offset:32
	;; [unrolled: 1-line block ×4, first 2 shown]
	ds_write_b64 v20, v[2:3]
	ds_read_b64 v[1:2], v20 offset:16
	ds_read_b64 v[3:4], v6 offset:192
	global_load_dwordx2 v[7:8], v[7:8], off offset:80
	s_waitcnt lgkmcnt(0)
	v_add_f32_e32 v17, v1, v3
	v_add_f32_e32 v18, v4, v2
	v_sub_f32_e32 v19, v1, v3
	v_sub_f32_e32 v3, v2, v4
	s_waitcnt vmcnt(4)
	v_fma_f32 v21, v19, v10, v17
	v_fma_f32 v4, v18, v10, v3
	v_fma_f32 v1, -v19, v10, v17
	v_fma_f32 v2, v18, v10, -v3
	v_fma_f32 v3, -v9, v18, v21
	v_fmac_f32_e32 v4, v19, v9
	v_fmac_f32_e32 v1, v9, v18
	v_fmac_f32_e32 v2, v19, v9
	ds_write_b64 v20, v[3:4] offset:16
	ds_write_b64 v6, v[1:2] offset:192
	ds_read_b64 v[1:2], v20 offset:32
	ds_read_b64 v[3:4], v6 offset:176
	s_waitcnt lgkmcnt(0)
	v_add_f32_e32 v9, v1, v3
	v_add_f32_e32 v10, v4, v2
	v_sub_f32_e32 v17, v1, v3
	v_sub_f32_e32 v3, v2, v4
	s_waitcnt vmcnt(3)
	v_fma_f32 v18, v17, v12, v9
	v_fma_f32 v4, v10, v12, v3
	v_fma_f32 v1, -v17, v12, v9
	v_fma_f32 v2, v10, v12, -v3
	v_fma_f32 v3, -v11, v10, v18
	v_fmac_f32_e32 v4, v17, v11
	v_fmac_f32_e32 v1, v11, v10
	v_fmac_f32_e32 v2, v17, v11
	ds_write_b64 v20, v[3:4] offset:32
	ds_write_b64 v6, v[1:2] offset:176
	ds_read_b64 v[1:2], v20 offset:48
	ds_read_b64 v[3:4], v6 offset:160
	;; [unrolled: 18-line block ×4, first 2 shown]
	s_waitcnt lgkmcnt(0)
	v_add_f32_e32 v9, v1, v3
	v_add_f32_e32 v10, v4, v2
	v_sub_f32_e32 v11, v1, v3
	v_sub_f32_e32 v1, v2, v4
	s_waitcnt vmcnt(0)
	v_fma_f32 v12, v11, v8, v9
	v_fma_f32 v2, v10, v8, v1
	v_fma_f32 v3, -v11, v8, v9
	v_fma_f32 v4, v10, v8, -v1
	v_fma_f32 v1, -v7, v10, v12
	v_fmac_f32_e32 v2, v11, v7
	v_fmac_f32_e32 v3, v7, v10
	v_fmac_f32_e32 v4, v11, v7
	ds_write_b64 v20, v[1:2] offset:80
	ds_write_b64 v6, v[3:4] offset:128
	s_and_saveexec_b64 s[2:3], s[0:1]
	s_cbranch_execz .LBB0_21
; %bb.20:
	ds_read2_b64 v[1:4], v39 offset0:12 offset1:14
	s_load_dwordx2 s[6:7], s[12:13], 0xc8
	s_waitcnt lgkmcnt(0)
	v_add_f32_e32 v6, v1, v3
	v_add_f32_e32 v7, v4, v2
	v_sub_f32_e32 v8, v1, v3
	v_sub_f32_e32 v4, v2, v4
	v_fma_f32 v1, s7, v8, v6
	v_fma_f32 v2, s7, v7, v4
	v_fma_f32 v3, -v8, s7, v6
	v_fma_f32 v4, v7, s7, -v4
	v_fma_f32 v1, -s6, v7, v1
	v_fmac_f32_e32 v2, s6, v8
	v_fmac_f32_e32 v3, s6, v7
	;; [unrolled: 1-line block ×3, first 2 shown]
	ds_write2_b64 v39, v[1:2], v[3:4] offset0:12 offset1:14
.LBB0_21:
	s_or_b64 exec, exec, s[2:3]
	s_waitcnt lgkmcnt(0)
	; wave barrier
	s_waitcnt lgkmcnt(0)
	s_waitcnt lgkmcnt(0)
	; wave barrier
	s_waitcnt lgkmcnt(0)
	ds_read_b64 v[1:2], v20
	v_lshl_add_u32 v42, v0, 3, 0
	v_add_u32_e32 v41, v42, v5
	ds_read2_b64 v[10:13], v41 offset0:2 offset1:4
	ds_read2_b64 v[14:17], v41 offset0:6 offset1:8
	;; [unrolled: 1-line block ×4, first 2 shown]
	s_mov_b32 s3, 0x3f62ad3f
	s_waitcnt lgkmcnt(3)
	v_add_f32_e32 v3, v1, v10
	v_add_f32_e32 v4, v2, v11
	v_add_f32_e32 v3, v3, v12
	v_add_f32_e32 v4, v4, v13
	s_waitcnt lgkmcnt(2)
	v_add_f32_e32 v3, v3, v14
	v_add_f32_e32 v4, v4, v15
	v_add_f32_e32 v3, v3, v16
	v_add_f32_e32 v4, v4, v17
	;; [unrolled: 5-line block ×3, first 2 shown]
	s_waitcnt lgkmcnt(0)
	v_add_f32_e32 v4, v45, v33
	v_add_f32_e32 v3, v46, v34
	v_sub_f32_e32 v6, v33, v45
	v_sub_f32_e32 v7, v34, v46
	v_add_f32_e32 v8, v43, v35
	v_add_f32_e32 v9, v44, v36
	v_sub_f32_e32 v23, v35, v43
	v_sub_f32_e32 v37, v36, v44
	ds_read2_b64 v[33:36], v41 offset0:18 offset1:20
	v_add_f32_e32 v18, v18, v43
	v_add_f32_e32 v19, v19, v44
	;; [unrolled: 1-line block ×4, first 2 shown]
	s_waitcnt lgkmcnt(0)
	v_add_f32_e32 v38, v35, v14
	v_add_f32_e32 v43, v36, v15
	v_sub_f32_e32 v44, v14, v35
	v_sub_f32_e32 v45, v15, v36
	v_add_f32_e32 v46, v33, v16
	v_add_f32_e32 v47, v34, v17
	v_sub_f32_e32 v48, v16, v33
	v_sub_f32_e32 v49, v17, v34
	ds_read2_b64 v[14:17], v41 offset0:22 offset1:24
	v_add_f32_e32 v18, v18, v33
	v_add_f32_e32 v19, v19, v34
	v_add_f32_e32 v18, v18, v35
	v_add_f32_e32 v19, v19, v36
	s_waitcnt lgkmcnt(0)
	v_sub_f32_e32 v34, v11, v17
	v_add_f32_e32 v21, v16, v10
	v_sub_f32_e32 v33, v10, v16
	v_add_f32_e32 v50, v14, v12
	v_sub_f32_e32 v52, v12, v14
	v_sub_f32_e32 v53, v13, v15
	v_add_f32_e32 v10, v18, v14
	v_mul_f32_e32 v14, 0xbeedf032, v34
	v_add_f32_e32 v22, v17, v11
	v_add_f32_e32 v51, v15, v13
	;; [unrolled: 1-line block ×3, first 2 shown]
	v_fma_f32 v12, v21, s3, -v14
	s_mov_b32 s2, 0x3f116cb1
	v_mul_f32_e32 v15, 0xbf52af12, v53
	v_add_f32_e32 v10, v10, v16
	v_add_f32_e32 v12, v1, v12
	v_fma_f32 v13, v50, s2, -v15
	v_mul_f32_e32 v16, 0xbeedf032, v33
	v_add_f32_e32 v11, v11, v17
	v_add_f32_e32 v12, v13, v12
	v_mov_b32_e32 v13, v16
	v_mul_f32_e32 v17, 0xbf52af12, v52
	v_fmac_f32_e32 v13, 0x3f62ad3f, v22
	v_mov_b32_e32 v18, v17
	v_add_f32_e32 v13, v2, v13
	v_fmac_f32_e32 v18, 0x3f116cb1, v51
	v_add_f32_e32 v13, v18, v13
	s_mov_b32 s6, 0x3df6dbef
	v_mul_f32_e32 v18, 0xbf7e222b, v45
	v_fma_f32 v19, v38, s6, -v18
	v_add_f32_e32 v12, v19, v12
	v_mul_f32_e32 v19, 0xbf7e222b, v44
	v_mov_b32_e32 v35, v19
	v_fmac_f32_e32 v35, 0x3df6dbef, v43
	v_add_f32_e32 v13, v35, v13
	s_mov_b32 s7, 0xbeb58ec6
	v_mul_f32_e32 v35, 0xbf6f5d39, v49
	v_fma_f32 v36, v46, s7, -v35
	v_add_f32_e32 v12, v36, v12
	v_mul_f32_e32 v36, 0xbf6f5d39, v48
	v_mov_b32_e32 v54, v36
	;; [unrolled: 8-line block ×4, first 2 shown]
	v_fmac_f32_e32 v58, 0xbf788fa5, v9
	v_mul_u32_u24_e32 v0, 0x68, v0
	v_add_f32_e32 v13, v58, v13
	v_add3_u32 v58, 0, v0, v5
	s_waitcnt lgkmcnt(0)
	; wave barrier
	ds_write2_b64 v58, v[10:11], v[12:13] offset1:1
	v_mul_f32_e32 v0, 0xbf52af12, v34
	v_mul_f32_e32 v10, 0xbf7e222b, v34
	;; [unrolled: 1-line block ×5, first 2 shown]
	v_fmac_f32_e32 v14, 0x3f62ad3f, v21
	v_fma_f32 v5, v21, s2, -v0
	v_fmac_f32_e32 v0, 0x3f116cb1, v21
	v_fma_f32 v11, v21, s6, -v10
	;; [unrolled: 2-line block ×5, first 2 shown]
	v_fmac_f32_e32 v34, 0xbf788fa5, v21
	v_mul_f32_e32 v21, 0xbf52af12, v33
	v_mov_b32_e32 v62, v21
	v_mul_f32_e32 v63, 0xbf7e222b, v33
	v_mul_f32_e32 v65, 0xbf6f5d39, v33
	;; [unrolled: 1-line block ×4, first 2 shown]
	v_fma_f32 v16, v22, s3, -v16
	v_fmac_f32_e32 v62, 0x3f116cb1, v22
	v_mov_b32_e32 v64, v63
	v_mov_b32_e32 v66, v65
	;; [unrolled: 1-line block ×4, first 2 shown]
	v_fma_f32 v21, v22, s2, -v21
	v_fmac_f32_e32 v64, 0x3df6dbef, v22
	v_fma_f32 v63, v22, s6, -v63
	v_fmac_f32_e32 v66, 0xbeb58ec6, v22
	;; [unrolled: 2-line block ×4, first 2 shown]
	v_fma_f32 v22, v22, s9, -v33
	v_add_f32_e32 v14, v1, v14
	v_add_f32_e32 v16, v2, v16
	;; [unrolled: 1-line block ×13, first 2 shown]
	v_fma_f32 v1, v51, s2, -v17
	v_add_f32_e32 v1, v1, v16
	v_fma_f32 v10, v43, s6, -v19
	v_add_f32_e32 v1, v10, v1
	;; [unrolled: 2-line block ×3, first 2 shown]
	v_fma_f32 v10, v3, s8, -v55
	v_fmac_f32_e32 v15, 0x3f116cb1, v50
	v_add_f32_e32 v1, v10, v1
	v_fma_f32 v10, v9, s9, -v57
	v_mul_f32_e32 v12, 0xbf6f5d39, v53
	v_add_f32_e32 v0, v15, v14
	v_add_f32_e32 v1, v10, v1
	v_fma_f32 v10, v50, s7, -v12
	v_mul_f32_e32 v13, 0xbf6f5d39, v52
	v_mul_f32_e32 v14, 0xbe750f2a, v45
	v_add_f32_e32 v5, v10, v5
	v_mov_b32_e32 v10, v13
	v_fma_f32 v11, v38, s9, -v14
	v_mul_f32_e32 v15, 0xbe750f2a, v44
	v_fmac_f32_e32 v10, 0xbeb58ec6, v51
	v_add_f32_e32 v5, v11, v5
	v_mov_b32_e32 v11, v15
	v_add_f32_e32 v10, v10, v33
	v_fmac_f32_e32 v11, 0xbf788fa5, v43
	v_mul_f32_e32 v16, 0x3f29c268, v49
	v_add_f32_e32 v10, v11, v10
	v_fma_f32 v11, v46, s8, -v16
	v_mul_f32_e32 v17, 0x3f29c268, v48
	v_fmac_f32_e32 v18, 0x3df6dbef, v38
	v_add_f32_e32 v5, v11, v5
	v_mov_b32_e32 v11, v17
	v_add_f32_e32 v0, v18, v0
	v_fmac_f32_e32 v11, 0xbf3f9e67, v47
	v_mul_f32_e32 v18, 0x3f7e222b, v7
	v_add_f32_e32 v10, v11, v10
	v_fma_f32 v11, v4, s6, -v18
	v_mul_f32_e32 v19, 0x3f7e222b, v6
	v_fmac_f32_e32 v12, 0xbeb58ec6, v50
	v_add_f32_e32 v21, v2, v21
	v_add_f32_e32 v5, v11, v5
	v_mov_b32_e32 v11, v19
	v_add_f32_e32 v12, v12, v62
	v_fma_f32 v13, v51, s7, -v13
	v_fmac_f32_e32 v14, 0xbf788fa5, v38
	v_add_f32_e32 v64, v2, v64
	v_add_f32_e32 v63, v2, v63
	;; [unrolled: 1-line block ×8, first 2 shown]
	v_fmac_f32_e32 v11, 0x3df6dbef, v3
	v_mul_f32_e32 v22, 0x3eedf032, v37
	v_add_f32_e32 v13, v13, v21
	v_add_f32_e32 v12, v14, v12
	v_fma_f32 v14, v43, s9, -v15
	v_add_f32_e32 v11, v11, v10
	v_fma_f32 v10, v8, s3, -v22
	;; [unrolled: 2-line block ×3, first 2 shown]
	v_add_f32_e32 v10, v10, v5
	v_mul_f32_e32 v5, 0x3eedf032, v23
	v_add_f32_e32 v13, v14, v13
	v_fma_f32 v14, v3, s6, -v19
	v_mov_b32_e32 v33, v5
	v_add_f32_e32 v13, v14, v13
	v_fma_f32 v5, v9, s3, -v5
	v_fmac_f32_e32 v16, 0xbf3f9e67, v46
	v_add_f32_e32 v13, v5, v13
	v_mul_f32_e32 v5, 0xbe750f2a, v53
	v_add_f32_e32 v12, v16, v12
	v_fmac_f32_e32 v18, 0x3df6dbef, v4
	v_fma_f32 v14, v50, s9, -v5
	v_mul_f32_e32 v17, 0x3f6f5d39, v45
	v_add_f32_e32 v12, v18, v12
	v_add_f32_e32 v14, v14, v70
	v_mul_f32_e32 v16, 0xbe750f2a, v52
	v_fma_f32 v18, v38, s7, -v17
	v_mov_b32_e32 v15, v16
	v_add_f32_e32 v14, v18, v14
	v_mul_f32_e32 v18, 0x3f6f5d39, v44
	v_fmac_f32_e32 v15, 0xbf788fa5, v51
	v_mov_b32_e32 v19, v18
	v_add_f32_e32 v15, v15, v64
	v_fmac_f32_e32 v19, 0xbeb58ec6, v43
	v_add_f32_e32 v15, v19, v15
	v_mul_f32_e32 v19, 0x3eedf032, v49
	v_fma_f32 v21, v46, s3, -v19
	v_fmac_f32_e32 v22, 0x3f62ad3f, v8
	v_add_f32_e32 v14, v21, v14
	v_mul_f32_e32 v21, 0x3eedf032, v48
	v_add_f32_e32 v12, v22, v12
	v_mov_b32_e32 v22, v21
	v_fmac_f32_e32 v22, 0x3f62ad3f, v47
	v_fmac_f32_e32 v33, 0x3f62ad3f, v9
	v_add_f32_e32 v15, v22, v15
	v_mul_f32_e32 v22, 0xbf52af12, v7
	v_add_f32_e32 v11, v33, v11
	v_fma_f32 v33, v4, s2, -v22
	v_add_f32_e32 v14, v33, v14
	v_mul_f32_e32 v33, 0xbf52af12, v6
	v_mov_b32_e32 v34, v33
	v_fmac_f32_e32 v5, 0xbf788fa5, v50
	v_fmac_f32_e32 v34, 0x3f116cb1, v3
	v_add_f32_e32 v5, v5, v71
	v_fma_f32 v16, v51, s9, -v16
	v_fmac_f32_e32 v17, 0xbeb58ec6, v38
	v_fmac_f32_e32 v35, 0xbeb58ec6, v46
	v_add_f32_e32 v15, v34, v15
	v_mul_f32_e32 v34, 0xbf29c268, v37
	v_add_f32_e32 v16, v16, v63
	v_add_f32_e32 v5, v17, v5
	v_fma_f32 v17, v43, s7, -v18
	v_fmac_f32_e32 v19, 0x3f62ad3f, v46
	v_add_f32_e32 v0, v35, v0
	v_fma_f32 v35, v8, s8, -v34
	v_add_f32_e32 v16, v17, v16
	v_add_f32_e32 v5, v19, v5
	v_fma_f32 v17, v47, s3, -v21
	v_fmac_f32_e32 v22, 0x3f116cb1, v4
	v_add_f32_e32 v14, v35, v14
	v_mul_f32_e32 v35, 0xbf29c268, v23
	v_add_f32_e32 v16, v17, v16
	v_add_f32_e32 v5, v22, v5
	v_fma_f32 v17, v3, s2, -v33
	v_fmac_f32_e32 v34, 0xbf3f9e67, v8
	v_add_f32_e32 v17, v17, v16
	v_add_f32_e32 v16, v34, v5
	v_fma_f32 v5, v9, s8, -v35
	v_add_f32_e32 v17, v5, v17
	v_mul_f32_e32 v5, 0x3f29c268, v53
	v_fma_f32 v18, v50, s8, -v5
	v_mul_f32_e32 v22, 0x3eedf032, v45
	v_add_f32_e32 v18, v18, v72
	v_mul_f32_e32 v21, 0x3f29c268, v52
	v_fma_f32 v33, v38, s3, -v22
	v_mov_b32_e32 v19, v21
	v_add_f32_e32 v18, v33, v18
	v_mul_f32_e32 v33, 0x3eedf032, v44
	v_fmac_f32_e32 v19, 0xbf3f9e67, v51
	v_mov_b32_e32 v34, v33
	v_add_f32_e32 v19, v19, v66
	v_fmac_f32_e32 v34, 0x3f62ad3f, v43
	v_add_f32_e32 v19, v34, v19
	v_mul_f32_e32 v34, 0xbf7e222b, v49
	v_mov_b32_e32 v36, v35
	v_fma_f32 v35, v46, s6, -v34
	v_fmac_f32_e32 v36, 0xbf3f9e67, v9
	v_add_f32_e32 v18, v35, v18
	v_mul_f32_e32 v35, 0xbf7e222b, v48
	v_add_f32_e32 v15, v36, v15
	v_mov_b32_e32 v36, v35
	v_fmac_f32_e32 v36, 0x3df6dbef, v47
	v_fmac_f32_e32 v54, 0xbf3f9e67, v4
	v_add_f32_e32 v19, v36, v19
	v_mul_f32_e32 v36, 0x3e750f2a, v7
	v_add_f32_e32 v0, v54, v0
	v_fma_f32 v54, v4, s9, -v36
	v_add_f32_e32 v18, v54, v18
	v_mul_f32_e32 v54, 0x3e750f2a, v6
	v_mov_b32_e32 v55, v54
	v_fmac_f32_e32 v5, 0xbf3f9e67, v50
	v_fmac_f32_e32 v55, 0xbf788fa5, v3
	v_add_f32_e32 v5, v5, v73
	v_fma_f32 v21, v51, s8, -v21
	v_fmac_f32_e32 v22, 0x3f62ad3f, v38
	v_fmac_f32_e32 v56, 0xbf788fa5, v8
	v_add_f32_e32 v19, v55, v19
	v_mul_f32_e32 v55, 0x3f52af12, v37
	v_add_f32_e32 v21, v21, v65
	v_add_f32_e32 v5, v22, v5
	v_fma_f32 v22, v43, s3, -v33
	v_fmac_f32_e32 v34, 0x3df6dbef, v46
	v_add_f32_e32 v0, v56, v0
	v_fma_f32 v56, v8, s2, -v55
	v_add_f32_e32 v21, v22, v21
	v_add_f32_e32 v5, v34, v5
	v_fma_f32 v22, v47, s6, -v35
	v_fmac_f32_e32 v36, 0xbf788fa5, v4
	v_add_f32_e32 v18, v56, v18
	v_mul_f32_e32 v56, 0x3f52af12, v23
	v_add_f32_e32 v21, v22, v21
	v_add_f32_e32 v5, v36, v5
	v_fma_f32 v22, v3, s9, -v54
	v_fmac_f32_e32 v55, 0x3f116cb1, v8
	v_add_f32_e32 v22, v22, v21
	v_add_f32_e32 v21, v55, v5
	v_fma_f32 v5, v9, s2, -v56
	v_add_f32_e32 v22, v5, v22
	v_mul_f32_e32 v5, 0x3f7e222b, v53
	v_fma_f32 v33, v50, s6, -v5
	v_mul_f32_e32 v36, 0xbf52af12, v45
	v_add_f32_e32 v33, v33, v60
	v_mul_f32_e32 v35, 0x3f7e222b, v52
	v_fma_f32 v54, v38, s2, -v36
	v_mov_b32_e32 v34, v35
	v_add_f32_e32 v33, v54, v33
	v_mul_f32_e32 v54, 0xbf52af12, v44
	v_fmac_f32_e32 v34, 0x3df6dbef, v51
	v_mov_b32_e32 v55, v54
	v_add_f32_e32 v34, v34, v68
	v_fmac_f32_e32 v55, 0x3f116cb1, v43
	v_add_f32_e32 v34, v55, v34
	v_mul_f32_e32 v55, 0x3e750f2a, v49
	v_mov_b32_e32 v57, v56
	v_fma_f32 v56, v46, s9, -v55
	v_fmac_f32_e32 v57, 0x3f116cb1, v9
	v_add_f32_e32 v33, v56, v33
	v_mul_f32_e32 v56, 0x3e750f2a, v48
	v_add_f32_e32 v19, v57, v19
	v_mov_b32_e32 v57, v56
	v_fmac_f32_e32 v57, 0xbf788fa5, v47
	v_add_f32_e32 v34, v57, v34
	v_mul_f32_e32 v57, 0x3eedf032, v7
	v_fma_f32 v60, v4, s3, -v57
	v_add_f32_e32 v33, v60, v33
	v_mul_f32_e32 v60, 0x3eedf032, v6
	v_mov_b32_e32 v62, v60
	v_fmac_f32_e32 v5, 0x3df6dbef, v50
	v_fmac_f32_e32 v62, 0x3f62ad3f, v3
	v_add_f32_e32 v5, v5, v59
	v_fma_f32 v35, v51, s6, -v35
	v_fmac_f32_e32 v36, 0x3f116cb1, v38
	v_add_f32_e32 v34, v62, v34
	v_mul_f32_e32 v62, 0xbf6f5d39, v37
	v_add_f32_e32 v35, v35, v67
	v_add_f32_e32 v5, v36, v5
	v_fma_f32 v36, v43, s2, -v54
	v_fmac_f32_e32 v55, 0xbf788fa5, v46
	v_fma_f32 v63, v8, s7, -v62
	v_add_f32_e32 v35, v36, v35
	v_add_f32_e32 v5, v55, v5
	v_fma_f32 v36, v47, s9, -v56
	v_fmac_f32_e32 v57, 0x3f62ad3f, v4
	v_add_f32_e32 v33, v63, v33
	v_mul_f32_e32 v63, 0xbf6f5d39, v23
	v_add_f32_e32 v35, v36, v35
	v_add_f32_e32 v5, v57, v5
	v_fma_f32 v36, v3, s3, -v60
	v_fmac_f32_e32 v62, 0xbeb58ec6, v8
	v_add_f32_e32 v36, v36, v35
	v_add_f32_e32 v35, v62, v5
	v_fma_f32 v5, v9, s7, -v63
	v_mul_f32_e32 v53, 0x3eedf032, v53
	v_add_f32_e32 v36, v5, v36
	v_fma_f32 v5, v50, s3, -v53
	v_mul_f32_e32 v52, 0x3eedf032, v52
	v_mul_f32_e32 v45, 0xbf29c268, v45
	v_add_f32_e32 v5, v5, v61
	v_mov_b32_e32 v54, v52
	v_fma_f32 v55, v38, s8, -v45
	v_mul_f32_e32 v44, 0xbf29c268, v44
	v_fmac_f32_e32 v54, 0x3f62ad3f, v51
	v_add_f32_e32 v5, v55, v5
	v_mov_b32_e32 v55, v44
	v_add_f32_e32 v54, v54, v69
	v_fmac_f32_e32 v55, 0xbf3f9e67, v43
	v_mul_f32_e32 v49, 0x3f52af12, v49
	v_add_f32_e32 v54, v55, v54
	v_fma_f32 v55, v46, s2, -v49
	v_mul_f32_e32 v48, 0x3f52af12, v48
	v_add_f32_e32 v5, v55, v5
	v_mov_b32_e32 v55, v48
	v_fmac_f32_e32 v55, 0x3f116cb1, v47
	v_mul_f32_e32 v7, 0xbf6f5d39, v7
	v_add_f32_e32 v54, v55, v54
	v_fma_f32 v55, v4, s7, -v7
	v_add_f32_e32 v5, v55, v5
	v_mul_f32_e32 v55, 0xbf6f5d39, v6
	v_mov_b32_e32 v6, v55
	v_fmac_f32_e32 v6, 0xbeb58ec6, v3
	v_mul_f32_e32 v37, 0x3f7e222b, v37
	v_fmac_f32_e32 v53, 0x3f62ad3f, v50
	v_fma_f32 v51, v51, s3, -v52
	v_add_f32_e32 v6, v6, v54
	v_fma_f32 v54, v8, s6, -v37
	v_mul_f32_e32 v23, 0x3f7e222b, v23
	v_add_f32_e32 v50, v53, v74
	v_add_f32_e32 v2, v51, v2
	v_fmac_f32_e32 v45, 0xbf3f9e67, v38
	v_fma_f32 v43, v43, s8, -v44
	v_add_f32_e32 v5, v54, v5
	v_mov_b32_e32 v54, v23
	v_add_f32_e32 v38, v45, v50
	v_add_f32_e32 v2, v43, v2
	v_fmac_f32_e32 v49, 0x3f116cb1, v46
	v_fma_f32 v43, v47, s2, -v48
	v_mov_b32_e32 v64, v63
	v_fmac_f32_e32 v54, 0x3df6dbef, v9
	v_add_f32_e32 v38, v49, v38
	v_add_f32_e32 v2, v43, v2
	v_fmac_f32_e32 v7, 0xbeb58ec6, v4
	v_fma_f32 v3, v3, s7, -v55
	v_fmac_f32_e32 v64, 0xbeb58ec6, v9
	v_add_f32_e32 v6, v54, v6
	v_add_f32_e32 v4, v7, v38
	;; [unrolled: 1-line block ×3, first 2 shown]
	v_fmac_f32_e32 v37, 0x3df6dbef, v8
	v_fma_f32 v7, v9, s6, -v23
	v_add_f32_e32 v34, v64, v34
	v_add_f32_e32 v2, v37, v4
	;; [unrolled: 1-line block ×3, first 2 shown]
	ds_write2_b64 v58, v[10:11], v[14:15] offset0:2 offset1:3
	ds_write2_b64 v58, v[18:19], v[33:34] offset0:4 offset1:5
	;; [unrolled: 1-line block ×5, first 2 shown]
	ds_write_b64 v58, v[0:1] offset:96
	s_waitcnt lgkmcnt(0)
	; wave barrier
	s_waitcnt lgkmcnt(0)
	ds_read2_b64 v[4:7], v41 offset0:10 offset1:13
	ds_read2_b64 v[12:15], v41 offset0:2 offset1:4
	;; [unrolled: 1-line block ×4, first 2 shown]
	ds_read_b64 v[35:36], v20
	ds_read_b64 v[37:38], v41 offset:184
	ds_read2_b64 v[20:23], v41 offset0:19 offset1:21
	v_mov_b32_e32 v33, 0
	v_mov_b32_e32 v34, 0
	s_and_saveexec_b64 s[2:3], s[0:1]
	s_cbranch_execz .LBB0_23
; %bb.22:
	ds_read2_b64 v[0:3], v39 offset0:12 offset1:25
	v_mov_b32_e32 v33, 12
	v_mov_b32_e32 v34, 0
.LBB0_23:
	s_or_b64 exec, exec, s[2:3]
	v_mov_b32_e32 v34, s13
	v_add_co_u32_e64 v29, s[2:3], s12, v29
	v_addc_co_u32_e64 v30, s[2:3], v34, v30, s[2:3]
	v_add_co_u32_e64 v31, s[2:3], s12, v31
	v_addc_co_u32_e64 v32, s[2:3], v34, v32, s[2:3]
	global_load_dwordx2 v[29:30], v[29:30], off
	s_nop 0
	global_load_dwordx2 v[43:44], v[31:32], off offset:16
	global_load_dwordx2 v[45:46], v[31:32], off offset:32
	;; [unrolled: 1-line block ×5, first 2 shown]
	v_lshl_add_u32 v34, v40, 3, v42
	s_waitcnt lgkmcnt(0)
	; wave barrier
	s_waitcnt vmcnt(4) lgkmcnt(0)
	v_mul_f32_e32 v32, v44, v17
	v_mul_f32_e32 v40, v44, v16
	s_waitcnt vmcnt(3)
	v_mul_f32_e32 v42, v46, v19
	v_mul_f32_e32 v31, v30, v7
	;; [unrolled: 1-line block ×4, first 2 shown]
	s_waitcnt vmcnt(2)
	v_mul_f32_e32 v46, v48, v21
	v_mul_f32_e32 v48, v48, v20
	s_waitcnt vmcnt(1)
	v_mul_f32_e32 v53, v50, v23
	v_mul_f32_e32 v50, v50, v22
	;; [unrolled: 3-line block ×3, first 2 shown]
	v_fma_f32 v6, v29, v6, -v31
	v_fmac_f32_e32 v30, v29, v7
	v_fma_f32 v16, v43, v16, -v32
	v_fmac_f32_e32 v40, v43, v17
	;; [unrolled: 2-line block ×6, first 2 shown]
	v_sub_f32_e32 v6, v35, v6
	v_sub_f32_e32 v7, v36, v30
	;; [unrolled: 1-line block ×12, first 2 shown]
	v_fma_f32 v31, v35, 2.0, -v6
	v_fma_f32 v32, v36, 2.0, -v7
	;; [unrolled: 1-line block ×12, first 2 shown]
	ds_write_b64 v41, v[6:7] offset:104
	ds_write2_b64 v34, v[16:17], v[18:19] offset0:15 offset1:17
	ds_write2_b64 v34, v[20:21], v[22:23] offset0:19 offset1:21
	ds_write2_b64 v41, v[31:32], v[12:13] offset1:2
	ds_write2_b64 v41, v[14:15], v[8:9] offset0:4 offset1:6
	ds_write2_b64 v41, v[10:11], v[4:5] offset0:8 offset1:10
	ds_write_b64 v34, v[29:30] offset:184
	s_and_saveexec_b64 s[2:3], s[0:1]
	s_cbranch_execz .LBB0_25
; %bb.24:
	v_lshlrev_b32_e32 v4, 3, v33
	global_load_dwordx2 v[4:5], v4, s[12:13]
	s_waitcnt vmcnt(0)
	v_mul_f32_e32 v6, v2, v5
	v_mul_f32_e32 v5, v3, v5
	v_fmac_f32_e32 v6, v3, v4
	v_fma_f32 v2, v2, v4, -v5
	v_sub_f32_e32 v3, v1, v6
	v_sub_f32_e32 v2, v0, v2
	v_fma_f32 v1, v1, 2.0, -v3
	v_fma_f32 v0, v0, 2.0, -v2
	ds_write2_b64 v39, v[0:1], v[2:3] offset0:12 offset1:25
.LBB0_25:
	s_or_b64 exec, exec, s[2:3]
	s_waitcnt lgkmcnt(0)
	; wave barrier
	s_waitcnt lgkmcnt(0)
	s_and_saveexec_b64 s[0:1], vcc
	s_cbranch_execz .LBB0_27
; %bb.26:
	v_mul_lo_u32 v2, s5, v26
	v_mul_lo_u32 v3, s4, v27
	v_mad_u64_u32 v[0:1], s[0:1], s4, v26, 0
	v_lshl_add_u32 v10, v28, 3, v39
	v_mov_b32_e32 v29, 0
	v_add3_u32 v1, v1, v3, v2
	v_lshlrev_b64 v[0:1], 3, v[0:1]
	v_mov_b32_e32 v2, s11
	v_add_co_u32_e32 v3, vcc, s10, v0
	v_addc_co_u32_e32 v2, vcc, v2, v1, vcc
	v_lshlrev_b64 v[0:1], 3, v[24:25]
	v_lshlrev_b64 v[4:5], 3, v[28:29]
	v_add_co_u32_e32 v11, vcc, v3, v0
	v_addc_co_u32_e32 v12, vcc, v2, v1, vcc
	ds_read2_b64 v[0:3], v10 offset1:2
	v_add_co_u32_e32 v8, vcc, v11, v4
	v_addc_co_u32_e32 v9, vcc, v12, v5, vcc
	s_waitcnt lgkmcnt(0)
	global_store_dwordx2 v[8:9], v[0:1], off
	v_add_u32_e32 v0, 2, v28
	v_mov_b32_e32 v1, v29
	v_lshlrev_b64 v[0:1], 3, v[0:1]
	ds_read2_b64 v[4:7], v10 offset0:4 offset1:6
	v_add_co_u32_e32 v0, vcc, v11, v0
	v_addc_co_u32_e32 v1, vcc, v12, v1, vcc
	global_store_dwordx2 v[0:1], v[2:3], off
	v_add_u32_e32 v0, 4, v28
	v_mov_b32_e32 v1, v29
	v_lshlrev_b64 v[0:1], 3, v[0:1]
	v_add_co_u32_e32 v0, vcc, v11, v0
	v_addc_co_u32_e32 v1, vcc, v12, v1, vcc
	s_waitcnt lgkmcnt(0)
	global_store_dwordx2 v[0:1], v[4:5], off
	v_add_u32_e32 v0, 6, v28
	v_mov_b32_e32 v1, v29
	v_lshlrev_b64 v[0:1], 3, v[0:1]
	v_add_u32_e32 v4, 8, v28
	v_add_co_u32_e32 v0, vcc, v11, v0
	v_addc_co_u32_e32 v1, vcc, v12, v1, vcc
	global_store_dwordx2 v[0:1], v[6:7], off
	v_mov_b32_e32 v5, v29
	ds_read2_b64 v[0:3], v10 offset0:8 offset1:10
	v_lshlrev_b64 v[4:5], 3, v[4:5]
	v_add_co_u32_e32 v4, vcc, v11, v4
	v_addc_co_u32_e32 v5, vcc, v12, v5, vcc
	s_waitcnt lgkmcnt(0)
	global_store_dwordx2 v[4:5], v[0:1], off
	v_add_u32_e32 v0, 10, v28
	v_mov_b32_e32 v1, v29
	v_lshlrev_b64 v[0:1], 3, v[0:1]
	v_add_u32_e32 v4, 12, v28
	v_add_co_u32_e32 v0, vcc, v11, v0
	v_addc_co_u32_e32 v1, vcc, v12, v1, vcc
	global_store_dwordx2 v[0:1], v[2:3], off
	v_mov_b32_e32 v5, v29
	ds_read2_b64 v[0:3], v10 offset0:12 offset1:14
	;; [unrolled: 14-line block ×3, first 2 shown]
	v_lshlrev_b64 v[4:5], 3, v[4:5]
	v_add_co_u32_e32 v4, vcc, v11, v4
	v_addc_co_u32_e32 v5, vcc, v12, v5, vcc
	s_waitcnt lgkmcnt(0)
	global_store_dwordx2 v[4:5], v[0:1], off
	v_add_u32_e32 v0, 18, v28
	v_mov_b32_e32 v1, v29
	v_lshlrev_b64 v[0:1], 3, v[0:1]
	ds_read2_b64 v[4:7], v10 offset0:20 offset1:22
	ds_read_b64 v[8:9], v10 offset:192
	v_add_co_u32_e32 v0, vcc, v11, v0
	v_addc_co_u32_e32 v1, vcc, v12, v1, vcc
	global_store_dwordx2 v[0:1], v[2:3], off
	v_add_u32_e32 v0, 20, v28
	v_mov_b32_e32 v1, v29
	v_lshlrev_b64 v[0:1], 3, v[0:1]
	v_add_co_u32_e32 v0, vcc, v11, v0
	v_addc_co_u32_e32 v1, vcc, v12, v1, vcc
	s_waitcnt lgkmcnt(1)
	global_store_dwordx2 v[0:1], v[4:5], off
	v_add_u32_e32 v0, 22, v28
	v_mov_b32_e32 v1, v29
	v_lshlrev_b64 v[0:1], 3, v[0:1]
	v_add_u32_e32 v28, 24, v28
	v_add_co_u32_e32 v0, vcc, v11, v0
	v_addc_co_u32_e32 v1, vcc, v12, v1, vcc
	global_store_dwordx2 v[0:1], v[6:7], off
	v_lshlrev_b64 v[0:1], 3, v[28:29]
	v_add_co_u32_e32 v0, vcc, v11, v0
	v_addc_co_u32_e32 v1, vcc, v12, v1, vcc
	s_waitcnt lgkmcnt(0)
	global_store_dwordx2 v[0:1], v[8:9], off
.LBB0_27:
	s_endpgm
	.section	.rodata,"a",@progbits
	.p2align	6, 0x0
	.amdhsa_kernel fft_rtc_fwd_len26_factors_13_2_wgs_64_tpt_2_halfLds_sp_op_CI_CI_unitstride_sbrr_C2R_dirReg
		.amdhsa_group_segment_fixed_size 0
		.amdhsa_private_segment_fixed_size 0
		.amdhsa_kernarg_size 104
		.amdhsa_user_sgpr_count 6
		.amdhsa_user_sgpr_private_segment_buffer 1
		.amdhsa_user_sgpr_dispatch_ptr 0
		.amdhsa_user_sgpr_queue_ptr 0
		.amdhsa_user_sgpr_kernarg_segment_ptr 1
		.amdhsa_user_sgpr_dispatch_id 0
		.amdhsa_user_sgpr_flat_scratch_init 0
		.amdhsa_user_sgpr_private_segment_size 0
		.amdhsa_uses_dynamic_stack 0
		.amdhsa_system_sgpr_private_segment_wavefront_offset 0
		.amdhsa_system_sgpr_workgroup_id_x 1
		.amdhsa_system_sgpr_workgroup_id_y 0
		.amdhsa_system_sgpr_workgroup_id_z 0
		.amdhsa_system_sgpr_workgroup_info 0
		.amdhsa_system_vgpr_workitem_id 0
		.amdhsa_next_free_vgpr 75
		.amdhsa_next_free_sgpr 28
		.amdhsa_reserve_vcc 1
		.amdhsa_reserve_flat_scratch 0
		.amdhsa_float_round_mode_32 0
		.amdhsa_float_round_mode_16_64 0
		.amdhsa_float_denorm_mode_32 3
		.amdhsa_float_denorm_mode_16_64 3
		.amdhsa_dx10_clamp 1
		.amdhsa_ieee_mode 1
		.amdhsa_fp16_overflow 0
		.amdhsa_exception_fp_ieee_invalid_op 0
		.amdhsa_exception_fp_denorm_src 0
		.amdhsa_exception_fp_ieee_div_zero 0
		.amdhsa_exception_fp_ieee_overflow 0
		.amdhsa_exception_fp_ieee_underflow 0
		.amdhsa_exception_fp_ieee_inexact 0
		.amdhsa_exception_int_div_zero 0
	.end_amdhsa_kernel
	.text
.Lfunc_end0:
	.size	fft_rtc_fwd_len26_factors_13_2_wgs_64_tpt_2_halfLds_sp_op_CI_CI_unitstride_sbrr_C2R_dirReg, .Lfunc_end0-fft_rtc_fwd_len26_factors_13_2_wgs_64_tpt_2_halfLds_sp_op_CI_CI_unitstride_sbrr_C2R_dirReg
                                        ; -- End function
	.section	.AMDGPU.csdata,"",@progbits
; Kernel info:
; codeLenInByte = 6644
; NumSgprs: 32
; NumVgprs: 75
; ScratchSize: 0
; MemoryBound: 0
; FloatMode: 240
; IeeeMode: 1
; LDSByteSize: 0 bytes/workgroup (compile time only)
; SGPRBlocks: 3
; VGPRBlocks: 18
; NumSGPRsForWavesPerEU: 32
; NumVGPRsForWavesPerEU: 75
; Occupancy: 3
; WaveLimiterHint : 1
; COMPUTE_PGM_RSRC2:SCRATCH_EN: 0
; COMPUTE_PGM_RSRC2:USER_SGPR: 6
; COMPUTE_PGM_RSRC2:TRAP_HANDLER: 0
; COMPUTE_PGM_RSRC2:TGID_X_EN: 1
; COMPUTE_PGM_RSRC2:TGID_Y_EN: 0
; COMPUTE_PGM_RSRC2:TGID_Z_EN: 0
; COMPUTE_PGM_RSRC2:TIDIG_COMP_CNT: 0
	.type	__hip_cuid_b4e18b81ebb279f0,@object ; @__hip_cuid_b4e18b81ebb279f0
	.section	.bss,"aw",@nobits
	.globl	__hip_cuid_b4e18b81ebb279f0
__hip_cuid_b4e18b81ebb279f0:
	.byte	0                               ; 0x0
	.size	__hip_cuid_b4e18b81ebb279f0, 1

	.ident	"AMD clang version 19.0.0git (https://github.com/RadeonOpenCompute/llvm-project roc-6.4.0 25133 c7fe45cf4b819c5991fe208aaa96edf142730f1d)"
	.section	".note.GNU-stack","",@progbits
	.addrsig
	.addrsig_sym __hip_cuid_b4e18b81ebb279f0
	.amdgpu_metadata
---
amdhsa.kernels:
  - .args:
      - .actual_access:  read_only
        .address_space:  global
        .offset:         0
        .size:           8
        .value_kind:     global_buffer
      - .offset:         8
        .size:           8
        .value_kind:     by_value
      - .actual_access:  read_only
        .address_space:  global
        .offset:         16
        .size:           8
        .value_kind:     global_buffer
      - .actual_access:  read_only
        .address_space:  global
        .offset:         24
        .size:           8
        .value_kind:     global_buffer
      - .actual_access:  read_only
        .address_space:  global
        .offset:         32
        .size:           8
        .value_kind:     global_buffer
      - .offset:         40
        .size:           8
        .value_kind:     by_value
      - .actual_access:  read_only
        .address_space:  global
        .offset:         48
        .size:           8
        .value_kind:     global_buffer
      - .actual_access:  read_only
        .address_space:  global
        .offset:         56
        .size:           8
        .value_kind:     global_buffer
      - .offset:         64
        .size:           4
        .value_kind:     by_value
      - .actual_access:  read_only
        .address_space:  global
        .offset:         72
        .size:           8
        .value_kind:     global_buffer
      - .actual_access:  read_only
        .address_space:  global
        .offset:         80
        .size:           8
        .value_kind:     global_buffer
      - .actual_access:  read_only
        .address_space:  global
        .offset:         88
        .size:           8
        .value_kind:     global_buffer
      - .actual_access:  write_only
        .address_space:  global
        .offset:         96
        .size:           8
        .value_kind:     global_buffer
    .group_segment_fixed_size: 0
    .kernarg_segment_align: 8
    .kernarg_segment_size: 104
    .language:       OpenCL C
    .language_version:
      - 2
      - 0
    .max_flat_workgroup_size: 64
    .name:           fft_rtc_fwd_len26_factors_13_2_wgs_64_tpt_2_halfLds_sp_op_CI_CI_unitstride_sbrr_C2R_dirReg
    .private_segment_fixed_size: 0
    .sgpr_count:     32
    .sgpr_spill_count: 0
    .symbol:         fft_rtc_fwd_len26_factors_13_2_wgs_64_tpt_2_halfLds_sp_op_CI_CI_unitstride_sbrr_C2R_dirReg.kd
    .uniform_work_group_size: 1
    .uses_dynamic_stack: false
    .vgpr_count:     75
    .vgpr_spill_count: 0
    .wavefront_size: 64
amdhsa.target:   amdgcn-amd-amdhsa--gfx906
amdhsa.version:
  - 1
  - 2
...

	.end_amdgpu_metadata
